;; amdgpu-corpus repo=ggml-org/llama.cpp kind=compiled arch=gfx1201 opt=O3
	.amdgcn_target "amdgcn-amd-amdhsa--gfx1201"
	.amdhsa_code_object_version 6
	.section	.text._ZL21gated_linear_attn_f32ILi64EEviiiifPKfS1_S1_S1_S1_Pf,"axG",@progbits,_ZL21gated_linear_attn_f32ILi64EEviiiifPKfS1_S1_S1_S1_Pf,comdat
	.globl	_ZL21gated_linear_attn_f32ILi64EEviiiifPKfS1_S1_S1_S1_Pf ; -- Begin function _ZL21gated_linear_attn_f32ILi64EEviiiifPKfS1_S1_S1_S1_Pf
	.p2align	8
	.type	_ZL21gated_linear_attn_f32ILi64EEviiiifPKfS1_S1_S1_S1_Pf,@function
_ZL21gated_linear_attn_f32ILi64EEviiiifPKfS1_S1_S1_S1_Pf: ; @_ZL21gated_linear_attn_f32ILi64EEviiiifPKfS1_S1_S1_S1_Pf
; %bb.0:
	s_clause 0x1
	s_load_b128 s[16:19], s[0:1], 0x0
	s_load_b128 s[12:15], s[0:1], 0x38
	s_abs_i32 s5, ttmp9
	s_wait_kmcnt 0x0
	s_abs_i32 s2, s19
	s_delay_alu instid0(SALU_CYCLE_1) | instskip(SKIP_1) | instid1(SALU_CYCLE_2)
	s_cvt_f32_u32 s3, s2
	s_sub_co_i32 s4, 0, s2
	v_rcp_iflag_f32_e32 v1, s3
	s_delay_alu instid0(TRANS32_DEP_1) | instskip(SKIP_2) | instid1(SALU_CYCLE_2)
	v_readfirstlane_b32 s3, v1
	s_mul_f32 s3, s3, 0x4f7ffffe
	s_wait_alu 0xfffe
	s_cvt_u32_f32 s3, s3
	s_wait_alu 0xfffe
	s_delay_alu instid0(SALU_CYCLE_2) | instskip(NEXT) | instid1(SALU_CYCLE_1)
	s_mul_i32 s4, s4, s3
	s_mul_hi_u32 s4, s3, s4
	s_delay_alu instid0(SALU_CYCLE_1)
	s_add_co_i32 s3, s3, s4
	s_xor_b32 s4, ttmp9, s19
	s_wait_alu 0xfffe
	s_mul_hi_u32 s3, s5, s3
	s_ashr_i32 s4, s4, 31
	s_wait_alu 0xfffe
	s_mul_i32 s6, s3, s2
	s_delay_alu instid0(SALU_CYCLE_1)
	s_sub_co_i32 s5, s5, s6
	s_add_co_i32 s6, s3, 1
	s_sub_co_i32 s7, s5, s2
	s_cmp_ge_u32 s5, s2
	s_cselect_b32 s3, s6, s3
	s_cselect_b32 s5, s7, s5
	s_wait_alu 0xfffe
	s_add_co_i32 s6, s3, 1
	s_cmp_ge_u32 s5, s2
	s_cselect_b32 s2, s6, s3
	s_abs_i32 s7, s17
	s_wait_alu 0xfffe
	s_xor_b32 s2, s2, s4
	s_wait_alu 0xfffe
	s_sub_co_i32 s2, s2, s4
	s_wait_alu 0xfffe
	s_mul_i32 s3, s2, s19
	s_mul_i32 s4, s18, s2
	s_wait_alu 0xfffe
	s_sub_co_i32 s3, ttmp9, s3
	s_lshl_b32 s4, s4, 6
	s_wait_alu 0xfffe
	s_lshl_b32 s5, s3, 12
	v_lshl_add_u32 v4, s3, 6, v0
	v_add3_u32 v1, s5, s4, v0
	s_abs_i32 s4, s16
	s_wait_alu 0xfffe
	s_cvt_f32_u32 s5, s4
	s_sub_co_i32 s6, 0, s4
	v_ashrrev_i32_e32 v2, 31, v1
	s_delay_alu instid0(VALU_DEP_1) | instskip(NEXT) | instid1(VALU_DEP_1)
	v_lshlrev_b64_e32 v[2:3], 2, v[1:2]
	v_add_co_u32 v2, vcc_lo, s12, v2
	s_delay_alu instid0(VALU_DEP_1)
	v_add_co_ci_u32_e64 v3, null, s13, v3, vcc_lo
	s_mov_b32 s13, 0
	s_mov_b32 s12, exec_lo
	s_clause 0x1f
	global_load_b32 v70, v[2:3], off
	global_load_b32 v69, v[2:3], off offset:256
	global_load_b32 v68, v[2:3], off offset:512
	;; [unrolled: 1-line block ×31, first 2 shown]
	s_clause 0x1f
	global_load_b32 v38, v[2:3], off offset:8192
	global_load_b32 v37, v[2:3], off offset:8448
	global_load_b32 v36, v[2:3], off offset:8704
	global_load_b32 v35, v[2:3], off offset:8960
	global_load_b32 v34, v[2:3], off offset:9216
	global_load_b32 v33, v[2:3], off offset:9472
	global_load_b32 v32, v[2:3], off offset:9728
	global_load_b32 v31, v[2:3], off offset:9984
	global_load_b32 v30, v[2:3], off offset:10240
	global_load_b32 v29, v[2:3], off offset:10496
	global_load_b32 v28, v[2:3], off offset:10752
	global_load_b32 v27, v[2:3], off offset:11008
	global_load_b32 v26, v[2:3], off offset:11264
	global_load_b32 v25, v[2:3], off offset:11520
	global_load_b32 v24, v[2:3], off offset:11776
	global_load_b32 v23, v[2:3], off offset:12032
	global_load_b32 v22, v[2:3], off offset:12288
	global_load_b32 v21, v[2:3], off offset:12544
	global_load_b32 v20, v[2:3], off offset:12800
	global_load_b32 v19, v[2:3], off offset:13056
	global_load_b32 v18, v[2:3], off offset:13312
	global_load_b32 v17, v[2:3], off offset:13568
	global_load_b32 v16, v[2:3], off offset:13824
	global_load_b32 v15, v[2:3], off offset:14080
	global_load_b32 v14, v[2:3], off offset:14336
	global_load_b32 v13, v[2:3], off offset:14592
	global_load_b32 v12, v[2:3], off offset:14848
	global_load_b32 v11, v[2:3], off offset:15104
	global_load_b32 v10, v[2:3], off offset:15360
	global_load_b32 v9, v[2:3], off offset:15616
	global_load_b32 v8, v[2:3], off offset:15872
	global_load_b32 v7, v[2:3], off offset:16128
	s_wait_alu 0xfffe
	v_rcp_iflag_f32_e32 v2, s5
	s_delay_alu instid0(TRANS32_DEP_1) | instskip(SKIP_2) | instid1(SALU_CYCLE_2)
	v_readfirstlane_b32 s5, v2
	s_mul_f32 s5, s5, 0x4f7ffffe
	s_wait_alu 0xfffe
	s_cvt_u32_f32 s5, s5
	s_wait_alu 0xfffe
	s_delay_alu instid0(SALU_CYCLE_2) | instskip(NEXT) | instid1(SALU_CYCLE_1)
	s_mul_i32 s6, s6, s5
	s_mul_hi_u32 s6, s5, s6
	s_delay_alu instid0(SALU_CYCLE_1)
	s_add_co_i32 s5, s5, s6
	s_xor_b32 s6, s17, s16
	s_wait_alu 0xfffe
	s_mul_hi_u32 s5, s7, s5
	s_ashr_i32 s6, s6, 31
	s_wait_alu 0xfffe
	s_mul_i32 s8, s5, s4
	s_delay_alu instid0(SALU_CYCLE_1)
	s_sub_co_i32 s7, s7, s8
	s_add_co_i32 s8, s5, 1
	s_sub_co_i32 s9, s7, s4
	s_cmp_ge_u32 s7, s4
	s_cselect_b32 s5, s8, s5
	s_cselect_b32 s7, s9, s7
	s_wait_alu 0xfffe
	s_add_co_i32 s8, s5, 1
	s_cmp_ge_u32 s7, s4
	s_cselect_b32 s4, s8, s5
	s_wait_alu 0xfffe
	s_xor_b32 s4, s4, s6
	s_wait_alu 0xfffe
	s_sub_co_i32 s3, s4, s6
	s_wait_alu 0xfffe
	s_mul_i32 s3, s3, s18
	s_wait_alu 0xfffe
	v_mad_co_u64_u32 v[2:3], null, s3, s2, v[4:5]
	s_add_co_i32 s2, s2, 1
	s_wait_alu 0xfffe
	v_mad_co_u64_u32 v[4:5], null, s3, s2, v[4:5]
	s_delay_alu instid0(VALU_DEP_1)
	v_cmpx_lt_i32_e64 v2, v4
	s_cbranch_execz .LBB0_4
; %bb.1:
	s_clause 0x1
	s_load_b32 s16, s[0:1], 0x10
	s_load_b256 s[4:11], s[0:1], 0x18
	v_ashrrev_i32_e32 v3, 31, v2
	v_lshlrev_b32_e32 v0, 2, v0
	s_ashr_i32 s19, s18, 31
	s_delay_alu instid0(SALU_CYCLE_1) | instskip(NEXT) | instid1(VALU_DEP_2)
	s_lshl_b64 s[2:3], s[18:19], 2
	v_lshlrev_b64_e32 v[5:6], 2, v[2:3]
	v_mov_b32_e32 v3, 0
	v_add_nc_u32_e32 v71, 0x100, v0
	v_add_nc_u32_e32 v72, 0x200, v0
.LBB0_2:                                ; =>This Inner Loop Header: Depth=1
	s_wait_kmcnt 0x0
	s_delay_alu instid0(VALU_DEP_4)
	v_add_co_u32 v73, vcc_lo, s4, v5
	s_wait_alu 0xfffd
	v_add_co_ci_u32_e64 v74, null, s5, v6, vcc_lo
	v_add_co_u32 v75, vcc_lo, s8, v5
	s_wait_alu 0xfffd
	v_add_co_ci_u32_e64 v76, null, s9, v6, vcc_lo
	;; [unrolled: 3-line block ×3, first 2 shown]
	s_wait_loadcnt 0x0
	s_barrier_signal -1
	s_barrier_wait -1
	global_inv scope:SCOPE_SE
	global_load_b32 v79, v[73:74], off
	global_load_b32 v75, v[75:76], off
	;; [unrolled: 1-line block ×3, first 2 shown]
	v_add_co_u32 v73, vcc_lo, s6, v5
	s_wait_alu 0xfffd
	v_add_co_ci_u32_e64 v74, null, s7, v6, vcc_lo
	v_add_nc_u32_e32 v2, s18, v2
	s_wait_loadcnt 0x2
	ds_store_b32 v0, v79
	s_wait_loadcnt 0x1
	ds_store_b32 v71, v75
	;; [unrolled: 2-line block ×3, first 2 shown]
	s_wait_dscnt 0x0
	s_barrier_signal -1
	s_barrier_wait -1
	global_inv scope:SCOPE_SE
	global_load_b32 v73, v[73:74], off
	ds_load_b128 v[74:77], v3 offset:512
	ds_load_b128 v[78:81], v3 offset:528
	;; [unrolled: 1-line block ×4, first 2 shown]
	v_cmp_ge_i32_e64 s0, v2, v4
	s_or_b32 s13, s0, s13
	s_wait_dscnt 0x3
	v_dual_mul_f32 v70, v70, v74 :: v_dual_mul_f32 v69, v69, v75
	v_dual_mul_f32 v68, v68, v76 :: v_dual_mul_f32 v67, v67, v77
	ds_load_b128 v[74:77], v3 offset:576
	s_wait_dscnt 0x3
	v_dual_mul_f32 v66, v66, v78 :: v_dual_mul_f32 v65, v65, v79
	v_dual_mul_f32 v64, v64, v80 :: v_dual_mul_f32 v63, v63, v81
	ds_load_b128 v[78:81], v3 offset:592
	;; [unrolled: 4-line block ×11, first 2 shown]
	s_wait_dscnt 0x3
	v_dual_mul_f32 v26, v26, v86 :: v_dual_mul_f32 v25, v25, v87
	v_dual_mul_f32 v24, v24, v88 :: v_dual_mul_f32 v23, v23, v89
	ds_load_b128 v[86:89], v3
	s_wait_dscnt 0x3
	v_dual_mul_f32 v22, v22, v74 :: v_dual_mul_f32 v21, v21, v75
	v_dual_mul_f32 v20, v20, v76 :: v_dual_mul_f32 v19, v19, v77
	ds_load_b128 v[74:77], v3 offset:16
	s_wait_dscnt 0x3
	v_dual_mul_f32 v18, v18, v78 :: v_dual_mul_f32 v17, v17, v79
	v_dual_mul_f32 v16, v16, v80 :: v_dual_mul_f32 v15, v15, v81
	ds_load_b128 v[78:81], v3 offset:752
	;; [unrolled: 4-line block ×3, first 2 shown]
	s_wait_dscnt 0x1
	v_mul_f32_e32 v10, v10, v78
	v_dual_mul_f32 v8, v8, v80 :: v_dual_mul_f32 v7, v7, v81
	v_mul_f32_e32 v9, v9, v79
	s_wait_loadcnt 0x0
	v_fmac_f32_e32 v70, v73, v86
	v_fmac_f32_e32 v68, v73, v88
	;; [unrolled: 1-line block ×5, first 2 shown]
	ds_load_b128 v[86:89], v3 offset:48
	v_fmac_f32_e32 v65, v73, v75
	v_fmac_f32_e32 v64, v73, v76
	v_fmac_f32_e32 v63, v73, v77
	ds_load_b128 v[74:77], v3 offset:64
	s_wait_dscnt 0x2
	v_fmac_f32_e32 v62, v73, v82
	v_fmac_f32_e32 v61, v73, v83
	v_fmac_f32_e32 v60, v73, v84
	v_fmac_f32_e32 v59, v73, v85
	ds_load_b128 v[82:85], v3 offset:80
	s_wait_dscnt 0x2
	v_fmac_f32_e32 v58, v73, v86
	v_fmac_f32_e32 v57, v73, v87
	v_fmac_f32_e32 v56, v73, v88
	v_fmac_f32_e32 v55, v73, v89
	ds_load_b128 v[86:89], v3 offset:96
	s_wait_dscnt 0x2
	v_fmac_f32_e32 v54, v73, v74
	v_fmac_f32_e32 v53, v73, v75
	v_fmac_f32_e32 v52, v73, v76
	v_fmac_f32_e32 v51, v73, v77
	ds_load_b128 v[74:77], v3 offset:112
	s_wait_dscnt 0x2
	v_fmac_f32_e32 v50, v73, v82
	v_fmac_f32_e32 v49, v73, v83
	v_fmac_f32_e32 v48, v73, v84
	v_fmac_f32_e32 v47, v73, v85
	ds_load_b128 v[82:85], v3 offset:128
	s_wait_dscnt 0x2
	v_fmac_f32_e32 v46, v73, v86
	v_fmac_f32_e32 v45, v73, v87
	v_fmac_f32_e32 v44, v73, v88
	v_fmac_f32_e32 v43, v73, v89
	ds_load_b128 v[86:89], v3 offset:144
	s_wait_dscnt 0x2
	v_fmac_f32_e32 v42, v73, v74
	v_fmac_f32_e32 v41, v73, v75
	v_fmac_f32_e32 v40, v73, v76
	v_fmac_f32_e32 v39, v73, v77
	ds_load_b128 v[74:77], v3 offset:160
	s_wait_dscnt 0x2
	v_fmac_f32_e32 v38, v73, v82
	v_fmac_f32_e32 v37, v73, v83
	v_fmac_f32_e32 v36, v73, v84
	v_fmac_f32_e32 v35, v73, v85
	ds_load_b128 v[82:85], v3 offset:256
	s_wait_dscnt 0x2
	v_fmac_f32_e32 v34, v73, v86
	v_fmac_f32_e32 v33, v73, v87
	v_fmac_f32_e32 v32, v73, v88
	v_fmac_f32_e32 v31, v73, v89
	ds_load_b128 v[86:89], v3 offset:176
	s_wait_dscnt 0x2
	v_fmac_f32_e32 v30, v73, v74
	v_fmac_f32_e32 v29, v73, v75
	v_fmac_f32_e32 v28, v73, v76
	v_fmac_f32_e32 v27, v73, v77
	ds_load_b128 v[74:77], v3 offset:192
	s_wait_dscnt 0x1
	v_fmac_f32_e32 v26, v73, v86
	v_fmac_f32_e32 v25, v73, v87
	v_fmac_f32_e32 v24, v73, v88
	v_fmac_f32_e32 v23, v73, v89
	ds_load_b128 v[86:89], v3 offset:208
	s_wait_dscnt 0x1
	v_fmac_f32_e32 v22, v73, v74
	v_fmac_f32_e32 v21, v73, v75
	v_fmac_f32_e32 v20, v73, v76
	;; [unrolled: 1-line block ×3, first 2 shown]
	ds_load_b128 v[74:77], v3 offset:272
	v_fma_f32 v90, v70, v82, 0
	s_delay_alu instid0(VALU_DEP_1) | instskip(SKIP_1) | instid1(VALU_DEP_1)
	v_fmac_f32_e32 v90, v69, v83
	s_wait_dscnt 0x1
	v_dual_fmac_f32 v90, v68, v84 :: v_dual_fmac_f32 v17, v73, v87
	s_delay_alu instid0(VALU_DEP_1)
	v_fmac_f32_e32 v90, v67, v85
	ds_load_b128 v[82:85], v3 offset:288
	v_fmac_f32_e32 v18, v73, v86
	v_fmac_f32_e32 v16, v73, v88
	s_wait_dscnt 0x1
	v_dual_fmac_f32 v15, v73, v89 :: v_dual_fmac_f32 v90, v66, v74
	ds_load_b128 v[86:89], v3 offset:224
	v_fmac_f32_e32 v90, v65, v75
	s_delay_alu instid0(VALU_DEP_1) | instskip(NEXT) | instid1(VALU_DEP_1)
	v_fmac_f32_e32 v90, v64, v76
	v_fmac_f32_e32 v90, v63, v77
	ds_load_b128 v[74:77], v3 offset:304
	s_wait_dscnt 0x2
	v_fmac_f32_e32 v90, v62, v82
	s_delay_alu instid0(VALU_DEP_1) | instskip(NEXT) | instid1(VALU_DEP_1)
	v_fmac_f32_e32 v90, v61, v83
	v_fmac_f32_e32 v90, v60, v84
	s_delay_alu instid0(VALU_DEP_1) | instskip(SKIP_3) | instid1(VALU_DEP_1)
	v_fmac_f32_e32 v90, v59, v85
	ds_load_b128 v[82:85], v3 offset:320
	s_wait_dscnt 0x1
	v_fmac_f32_e32 v90, v58, v74
	v_fmac_f32_e32 v90, v57, v75
	s_delay_alu instid0(VALU_DEP_1) | instskip(NEXT) | instid1(VALU_DEP_1)
	v_fmac_f32_e32 v90, v56, v76
	v_fmac_f32_e32 v90, v55, v77
	ds_load_b128 v[74:77], v3 offset:336
	s_wait_dscnt 0x1
	v_fmac_f32_e32 v90, v54, v82
	s_delay_alu instid0(VALU_DEP_1) | instskip(NEXT) | instid1(VALU_DEP_1)
	v_fmac_f32_e32 v90, v53, v83
	v_fmac_f32_e32 v90, v52, v84
	s_delay_alu instid0(VALU_DEP_1) | instskip(SKIP_3) | instid1(VALU_DEP_1)
	v_fmac_f32_e32 v90, v51, v85
	ds_load_b128 v[82:85], v3 offset:352
	s_wait_dscnt 0x1
	v_fmac_f32_e32 v90, v50, v74
	;; [unrolled: 15-line block ×6, first 2 shown]
	v_fmac_f32_e32 v90, v17, v75
	s_delay_alu instid0(VALU_DEP_1) | instskip(NEXT) | instid1(VALU_DEP_1)
	v_fmac_f32_e32 v90, v16, v76
	v_fmac_f32_e32 v90, v15, v77
	ds_load_b128 v[74:77], v3 offset:240
	v_fmac_f32_e32 v14, v73, v86
	v_fmac_f32_e32 v13, v73, v87
	;; [unrolled: 1-line block ×4, first 2 shown]
	ds_load_b128 v[86:89], v3 offset:496
	s_wait_dscnt 0x2
	v_fmac_f32_e32 v90, v14, v82
	s_delay_alu instid0(VALU_DEP_1) | instskip(NEXT) | instid1(VALU_DEP_1)
	v_fmac_f32_e32 v90, v13, v83
	v_fmac_f32_e32 v90, v12, v84
	s_wait_dscnt 0x1
	v_fmac_f32_e32 v10, v73, v74
	s_delay_alu instid0(VALU_DEP_2)
	v_dual_fmac_f32 v90, v11, v85 :: v_dual_fmac_f32 v9, v73, v75
	v_fmac_f32_e32 v8, v73, v76
	v_fmac_f32_e32 v7, v73, v77
	v_add_co_u32 v74, vcc_lo, s14, v5
	s_wait_dscnt 0x0
	v_fmac_f32_e32 v90, v10, v86
	s_wait_alu 0xfffd
	v_add_co_ci_u32_e64 v75, null, s15, v6, vcc_lo
	s_wait_alu 0xfffe
	v_add_co_u32 v5, vcc_lo, v5, s2
	v_fmac_f32_e32 v90, v9, v87
	s_wait_alu 0xfffd
	v_add_co_ci_u32_e64 v6, null, s3, v6, vcc_lo
	s_delay_alu instid0(VALU_DEP_2) | instskip(NEXT) | instid1(VALU_DEP_1)
	v_fmac_f32_e32 v90, v8, v88
	v_fmac_f32_e32 v90, v7, v89
	s_delay_alu instid0(VALU_DEP_1)
	v_mul_f32_e32 v73, s16, v90
	global_store_b32 v[74:75], v73, off
	s_and_not1_b32 exec_lo, exec_lo, s13
	s_cbranch_execnz .LBB0_2
; %bb.3:
	s_or_b32 exec_lo, exec_lo, s13
.LBB0_4:
	s_delay_alu instid0(SALU_CYCLE_1) | instskip(SKIP_1) | instid1(VALU_DEP_1)
	s_or_b32 exec_lo, exec_lo, s12
	v_mad_co_u64_u32 v[0:1], null, s18, s17, v[1:2]
	v_ashrrev_i32_e32 v1, 31, v0
	s_delay_alu instid0(VALU_DEP_1) | instskip(NEXT) | instid1(VALU_DEP_1)
	v_lshlrev_b64_e32 v[0:1], 2, v[0:1]
	v_add_co_u32 v0, vcc_lo, s14, v0
	s_wait_alu 0xfffd
	s_delay_alu instid0(VALU_DEP_2)
	v_add_co_ci_u32_e64 v1, null, s15, v1, vcc_lo
	s_wait_loadcnt 0x3e
	s_clause 0x1
	global_store_b32 v[0:1], v70, off
	global_store_b32 v[0:1], v69, off offset:256
	s_wait_loadcnt 0x3d
	global_store_b32 v[0:1], v68, off offset:512
	s_wait_loadcnt 0x3c
	;; [unrolled: 2-line block ×62, first 2 shown]
	global_store_b32 v[0:1], v7, off offset:16128
	s_endpgm
	.section	.rodata,"a",@progbits
	.p2align	6, 0x0
	.amdhsa_kernel _ZL21gated_linear_attn_f32ILi64EEviiiifPKfS1_S1_S1_S1_Pf
		.amdhsa_group_segment_fixed_size 768
		.amdhsa_private_segment_fixed_size 0
		.amdhsa_kernarg_size 72
		.amdhsa_user_sgpr_count 2
		.amdhsa_user_sgpr_dispatch_ptr 0
		.amdhsa_user_sgpr_queue_ptr 0
		.amdhsa_user_sgpr_kernarg_segment_ptr 1
		.amdhsa_user_sgpr_dispatch_id 0
		.amdhsa_user_sgpr_private_segment_size 0
		.amdhsa_wavefront_size32 1
		.amdhsa_uses_dynamic_stack 0
		.amdhsa_enable_private_segment 0
		.amdhsa_system_sgpr_workgroup_id_x 1
		.amdhsa_system_sgpr_workgroup_id_y 0
		.amdhsa_system_sgpr_workgroup_id_z 0
		.amdhsa_system_sgpr_workgroup_info 0
		.amdhsa_system_vgpr_workitem_id 0
		.amdhsa_next_free_vgpr 91
		.amdhsa_next_free_sgpr 20
		.amdhsa_reserve_vcc 1
		.amdhsa_float_round_mode_32 0
		.amdhsa_float_round_mode_16_64 0
		.amdhsa_float_denorm_mode_32 3
		.amdhsa_float_denorm_mode_16_64 3
		.amdhsa_fp16_overflow 0
		.amdhsa_workgroup_processor_mode 1
		.amdhsa_memory_ordered 1
		.amdhsa_forward_progress 1
		.amdhsa_inst_pref_size 33
		.amdhsa_round_robin_scheduling 0
		.amdhsa_exception_fp_ieee_invalid_op 0
		.amdhsa_exception_fp_denorm_src 0
		.amdhsa_exception_fp_ieee_div_zero 0
		.amdhsa_exception_fp_ieee_overflow 0
		.amdhsa_exception_fp_ieee_underflow 0
		.amdhsa_exception_fp_ieee_inexact 0
		.amdhsa_exception_int_div_zero 0
	.end_amdhsa_kernel
	.section	.text._ZL21gated_linear_attn_f32ILi64EEviiiifPKfS1_S1_S1_S1_Pf,"axG",@progbits,_ZL21gated_linear_attn_f32ILi64EEviiiifPKfS1_S1_S1_S1_Pf,comdat
.Lfunc_end0:
	.size	_ZL21gated_linear_attn_f32ILi64EEviiiifPKfS1_S1_S1_S1_Pf, .Lfunc_end0-_ZL21gated_linear_attn_f32ILi64EEviiiifPKfS1_S1_S1_S1_Pf
                                        ; -- End function
	.set _ZL21gated_linear_attn_f32ILi64EEviiiifPKfS1_S1_S1_S1_Pf.num_vgpr, 91
	.set _ZL21gated_linear_attn_f32ILi64EEviiiifPKfS1_S1_S1_S1_Pf.num_agpr, 0
	.set _ZL21gated_linear_attn_f32ILi64EEviiiifPKfS1_S1_S1_S1_Pf.numbered_sgpr, 20
	.set _ZL21gated_linear_attn_f32ILi64EEviiiifPKfS1_S1_S1_S1_Pf.num_named_barrier, 0
	.set _ZL21gated_linear_attn_f32ILi64EEviiiifPKfS1_S1_S1_S1_Pf.private_seg_size, 0
	.set _ZL21gated_linear_attn_f32ILi64EEviiiifPKfS1_S1_S1_S1_Pf.uses_vcc, 1
	.set _ZL21gated_linear_attn_f32ILi64EEviiiifPKfS1_S1_S1_S1_Pf.uses_flat_scratch, 0
	.set _ZL21gated_linear_attn_f32ILi64EEviiiifPKfS1_S1_S1_S1_Pf.has_dyn_sized_stack, 0
	.set _ZL21gated_linear_attn_f32ILi64EEviiiifPKfS1_S1_S1_S1_Pf.has_recursion, 0
	.set _ZL21gated_linear_attn_f32ILi64EEviiiifPKfS1_S1_S1_S1_Pf.has_indirect_call, 0
	.section	.AMDGPU.csdata,"",@progbits
; Kernel info:
; codeLenInByte = 4144
; TotalNumSgprs: 22
; NumVgprs: 91
; ScratchSize: 0
; MemoryBound: 0
; FloatMode: 240
; IeeeMode: 1
; LDSByteSize: 768 bytes/workgroup (compile time only)
; SGPRBlocks: 0
; VGPRBlocks: 11
; NumSGPRsForWavesPerEU: 22
; NumVGPRsForWavesPerEU: 91
; Occupancy: 16
; WaveLimiterHint : 1
; COMPUTE_PGM_RSRC2:SCRATCH_EN: 0
; COMPUTE_PGM_RSRC2:USER_SGPR: 2
; COMPUTE_PGM_RSRC2:TRAP_HANDLER: 0
; COMPUTE_PGM_RSRC2:TGID_X_EN: 1
; COMPUTE_PGM_RSRC2:TGID_Y_EN: 0
; COMPUTE_PGM_RSRC2:TGID_Z_EN: 0
; COMPUTE_PGM_RSRC2:TIDIG_COMP_CNT: 0
	.section	.text._ZL21gated_linear_attn_f32ILi128EEviiiifPKfS1_S1_S1_S1_Pf,"axG",@progbits,_ZL21gated_linear_attn_f32ILi128EEviiiifPKfS1_S1_S1_S1_Pf,comdat
	.globl	_ZL21gated_linear_attn_f32ILi128EEviiiifPKfS1_S1_S1_S1_Pf ; -- Begin function _ZL21gated_linear_attn_f32ILi128EEviiiifPKfS1_S1_S1_S1_Pf
	.p2align	8
	.type	_ZL21gated_linear_attn_f32ILi128EEviiiifPKfS1_S1_S1_S1_Pf,@function
_ZL21gated_linear_attn_f32ILi128EEviiiifPKfS1_S1_S1_S1_Pf: ; @_ZL21gated_linear_attn_f32ILi128EEviiiifPKfS1_S1_S1_S1_Pf
; %bb.0:
	s_clause 0x1
	s_load_b128 s[16:19], s[0:1], 0x0
	s_load_b128 s[12:15], s[0:1], 0x38
	s_abs_i32 s5, ttmp9
	s_wait_kmcnt 0x0
	s_abs_i32 s2, s19
	s_delay_alu instid0(SALU_CYCLE_1) | instskip(SKIP_1) | instid1(SALU_CYCLE_2)
	s_cvt_f32_u32 s3, s2
	s_sub_co_i32 s4, 0, s2
	v_rcp_iflag_f32_e32 v1, s3
	s_delay_alu instid0(TRANS32_DEP_1) | instskip(SKIP_2) | instid1(SALU_CYCLE_2)
	v_readfirstlane_b32 s3, v1
	s_mul_f32 s3, s3, 0x4f7ffffe
	s_wait_alu 0xfffe
	s_cvt_u32_f32 s3, s3
	s_wait_alu 0xfffe
	s_delay_alu instid0(SALU_CYCLE_2) | instskip(NEXT) | instid1(SALU_CYCLE_1)
	s_mul_i32 s4, s4, s3
	s_mul_hi_u32 s4, s3, s4
	s_delay_alu instid0(SALU_CYCLE_1)
	s_add_co_i32 s3, s3, s4
	s_xor_b32 s4, ttmp9, s19
	s_wait_alu 0xfffe
	s_mul_hi_u32 s3, s5, s3
	s_ashr_i32 s4, s4, 31
	s_wait_alu 0xfffe
	s_mul_i32 s6, s3, s2
	s_delay_alu instid0(SALU_CYCLE_1)
	s_sub_co_i32 s5, s5, s6
	s_add_co_i32 s6, s3, 1
	s_sub_co_i32 s7, s5, s2
	s_cmp_ge_u32 s5, s2
	s_cselect_b32 s3, s6, s3
	s_cselect_b32 s5, s7, s5
	s_wait_alu 0xfffe
	s_add_co_i32 s6, s3, 1
	s_cmp_ge_u32 s5, s2
	s_cselect_b32 s2, s6, s3
	s_abs_i32 s7, s17
	s_wait_alu 0xfffe
	s_xor_b32 s2, s2, s4
	s_wait_alu 0xfffe
	s_sub_co_i32 s2, s2, s4
	s_wait_alu 0xfffe
	s_mul_i32 s3, s2, s19
	s_mul_i32 s4, s18, s2
	s_wait_alu 0xfffe
	s_sub_co_i32 s3, ttmp9, s3
	s_lshl_b32 s4, s4, 7
	s_wait_alu 0xfffe
	s_lshl_b32 s5, s3, 14
	v_lshl_add_u32 v4, s3, 7, v0
	v_add3_u32 v1, s5, s4, v0
	s_abs_i32 s4, s16
	s_wait_alu 0xfffe
	s_cvt_f32_u32 s5, s4
	s_sub_co_i32 s6, 0, s4
	v_ashrrev_i32_e32 v2, 31, v1
	s_delay_alu instid0(VALU_DEP_1) | instskip(NEXT) | instid1(VALU_DEP_1)
	v_lshlrev_b64_e32 v[2:3], 2, v[1:2]
	v_add_co_u32 v2, vcc_lo, s12, v2
	s_delay_alu instid0(VALU_DEP_1)
	v_add_co_ci_u32_e64 v3, null, s13, v3, vcc_lo
	s_mov_b32 s13, 0
	s_mov_b32 s12, exec_lo
	s_clause 0x1f
	global_load_b32 v134, v[2:3], off
	global_load_b32 v133, v[2:3], off offset:512
	global_load_b32 v132, v[2:3], off offset:1024
	global_load_b32 v131, v[2:3], off offset:1536
	global_load_b32 v130, v[2:3], off offset:2048
	global_load_b32 v129, v[2:3], off offset:2560
	global_load_b32 v128, v[2:3], off offset:3072
	global_load_b32 v127, v[2:3], off offset:3584
	global_load_b32 v126, v[2:3], off offset:4096
	global_load_b32 v125, v[2:3], off offset:4608
	global_load_b32 v124, v[2:3], off offset:5120
	global_load_b32 v123, v[2:3], off offset:5632
	global_load_b32 v122, v[2:3], off offset:6144
	global_load_b32 v121, v[2:3], off offset:6656
	global_load_b32 v120, v[2:3], off offset:7168
	global_load_b32 v119, v[2:3], off offset:7680
	global_load_b32 v118, v[2:3], off offset:8192
	global_load_b32 v117, v[2:3], off offset:8704
	global_load_b32 v116, v[2:3], off offset:9216
	global_load_b32 v115, v[2:3], off offset:9728
	global_load_b32 v114, v[2:3], off offset:10240
	global_load_b32 v113, v[2:3], off offset:10752
	global_load_b32 v112, v[2:3], off offset:11264
	global_load_b32 v111, v[2:3], off offset:11776
	global_load_b32 v110, v[2:3], off offset:12288
	global_load_b32 v109, v[2:3], off offset:12800
	global_load_b32 v108, v[2:3], off offset:13312
	global_load_b32 v107, v[2:3], off offset:13824
	global_load_b32 v106, v[2:3], off offset:14336
	global_load_b32 v105, v[2:3], off offset:14848
	global_load_b32 v104, v[2:3], off offset:15360
	global_load_b32 v103, v[2:3], off offset:15872
	s_clause 0x1f
	global_load_b32 v102, v[2:3], off offset:16384
	global_load_b32 v101, v[2:3], off offset:16896
	global_load_b32 v100, v[2:3], off offset:17408
	global_load_b32 v99, v[2:3], off offset:17920
	global_load_b32 v98, v[2:3], off offset:18432
	global_load_b32 v97, v[2:3], off offset:18944
	global_load_b32 v96, v[2:3], off offset:19456
	global_load_b32 v95, v[2:3], off offset:19968
	global_load_b32 v94, v[2:3], off offset:20480
	global_load_b32 v93, v[2:3], off offset:20992
	global_load_b32 v92, v[2:3], off offset:21504
	global_load_b32 v91, v[2:3], off offset:22016
	global_load_b32 v90, v[2:3], off offset:22528
	global_load_b32 v89, v[2:3], off offset:23040
	global_load_b32 v88, v[2:3], off offset:23552
	global_load_b32 v87, v[2:3], off offset:24064
	global_load_b32 v86, v[2:3], off offset:24576
	global_load_b32 v85, v[2:3], off offset:25088
	global_load_b32 v84, v[2:3], off offset:25600
	global_load_b32 v83, v[2:3], off offset:26112
	global_load_b32 v82, v[2:3], off offset:26624
	global_load_b32 v81, v[2:3], off offset:27136
	global_load_b32 v80, v[2:3], off offset:27648
	global_load_b32 v79, v[2:3], off offset:28160
	global_load_b32 v78, v[2:3], off offset:28672
	global_load_b32 v77, v[2:3], off offset:29184
	global_load_b32 v76, v[2:3], off offset:29696
	global_load_b32 v75, v[2:3], off offset:30208
	global_load_b32 v74, v[2:3], off offset:30720
	global_load_b32 v73, v[2:3], off offset:31232
	global_load_b32 v72, v[2:3], off offset:31744
	global_load_b32 v71, v[2:3], off offset:32256
	s_clause 0x1f
	global_load_b32 v70, v[2:3], off offset:32768
	;; [unrolled: 33-line block ×3, first 2 shown]
	global_load_b32 v37, v[2:3], off offset:49664
	global_load_b32 v36, v[2:3], off offset:50176
	;; [unrolled: 1-line block ×31, first 2 shown]
	s_wait_alu 0xfffe
	v_rcp_iflag_f32_e32 v2, s5
	s_delay_alu instid0(TRANS32_DEP_1) | instskip(SKIP_2) | instid1(SALU_CYCLE_2)
	v_readfirstlane_b32 s5, v2
	s_mul_f32 s5, s5, 0x4f7ffffe
	s_wait_alu 0xfffe
	s_cvt_u32_f32 s5, s5
	s_wait_alu 0xfffe
	s_delay_alu instid0(SALU_CYCLE_2) | instskip(NEXT) | instid1(SALU_CYCLE_1)
	s_mul_i32 s6, s6, s5
	s_mul_hi_u32 s6, s5, s6
	s_delay_alu instid0(SALU_CYCLE_1)
	s_add_co_i32 s5, s5, s6
	s_xor_b32 s6, s17, s16
	s_wait_alu 0xfffe
	s_mul_hi_u32 s5, s7, s5
	s_ashr_i32 s6, s6, 31
	s_wait_alu 0xfffe
	s_mul_i32 s8, s5, s4
	s_delay_alu instid0(SALU_CYCLE_1)
	s_sub_co_i32 s7, s7, s8
	s_add_co_i32 s8, s5, 1
	s_sub_co_i32 s9, s7, s4
	s_cmp_ge_u32 s7, s4
	s_cselect_b32 s5, s8, s5
	s_cselect_b32 s7, s9, s7
	s_wait_alu 0xfffe
	s_add_co_i32 s8, s5, 1
	s_cmp_ge_u32 s7, s4
	s_cselect_b32 s4, s8, s5
	s_add_co_i32 s3, s2, 1
	s_wait_alu 0xfffe
	s_xor_b32 s4, s4, s6
	s_wait_alu 0xfffe
	s_sub_co_i32 s4, s4, s6
	s_wait_alu 0xfffe
	s_mul_i32 s4, s4, s18
	s_wait_alu 0xfffe
	v_mad_co_u64_u32 v[2:3], null, s4, s2, v[4:5]
	v_mad_co_u64_u32 v[4:5], null, s4, s3, v[4:5]
	s_delay_alu instid0(VALU_DEP_1)
	v_cmpx_lt_i32_e64 v2, v4
	s_cbranch_execz .LBB1_4
; %bb.1:
	s_clause 0x1
	s_load_b32 s16, s[0:1], 0x10
	s_load_b256 s[4:11], s[0:1], 0x18
	v_ashrrev_i32_e32 v3, 31, v2
	v_lshlrev_b32_e32 v0, 2, v0
	s_ashr_i32 s19, s18, 31
	s_delay_alu instid0(SALU_CYCLE_1) | instskip(NEXT) | instid1(VALU_DEP_2)
	s_lshl_b64 s[2:3], s[18:19], 2
	v_lshlrev_b64_e32 v[5:6], 2, v[2:3]
	v_mov_b32_e32 v3, 0
.LBB1_2:                                ; =>This Inner Loop Header: Depth=1
	s_wait_kmcnt 0x0
	s_delay_alu instid0(VALU_DEP_2) | instskip(SKIP_1) | instid1(VALU_DEP_3)
	v_add_co_u32 v135, vcc_lo, s4, v5
	s_wait_alu 0xfffd
	v_add_co_ci_u32_e64 v136, null, s5, v6, vcc_lo
	v_add_co_u32 v137, vcc_lo, s8, v5
	s_wait_alu 0xfffd
	v_add_co_ci_u32_e64 v138, null, s9, v6, vcc_lo
	s_wait_loadcnt 0x0
	s_barrier_signal -1
	s_barrier_wait -1
	global_inv scope:SCOPE_SE
	global_load_b32 v139, v[135:136], off
	global_load_b32 v137, v[137:138], off
	v_add_co_u32 v135, vcc_lo, s10, v5
	s_wait_alu 0xfffd
	v_add_co_ci_u32_e64 v136, null, s11, v6, vcc_lo
	v_add_nc_u32_e32 v138, 0x400, v0
	v_add_nc_u32_e32 v2, s18, v2
	global_load_b32 v135, v[135:136], off
	v_add_nc_u32_e32 v136, 0x200, v0
	v_cmp_ge_i32_e64 s0, v2, v4
	s_or_b32 s13, s0, s13
	s_wait_loadcnt 0x2
	ds_store_b32 v0, v139
	s_wait_loadcnt 0x1
	ds_store_b32 v136, v137
	;; [unrolled: 2-line block ×3, first 2 shown]
	s_wait_dscnt 0x0
	s_barrier_signal -1
	s_barrier_wait -1
	global_inv scope:SCOPE_SE
	ds_load_b128 v[135:138], v3 offset:1024
	ds_load_b128 v[139:142], v3 offset:1040
	s_wait_dscnt 0x1
	v_dual_mul_f32 v134, v134, v135 :: v_dual_mul_f32 v133, v133, v136
	s_wait_dscnt 0x0
	v_dual_mul_f32 v132, v132, v137 :: v_dual_mul_f32 v129, v129, v140
	v_dual_mul_f32 v131, v131, v138 :: v_dual_mul_f32 v130, v130, v139
	v_dual_mul_f32 v128, v128, v141 :: v_dual_mul_f32 v127, v127, v142
	ds_load_b128 v[135:138], v3 offset:1056
	ds_load_b128 v[139:142], v3 offset:1072
	s_wait_dscnt 0x0
	v_dual_mul_f32 v126, v126, v135 :: v_dual_mul_f32 v121, v121, v140
	v_dual_mul_f32 v125, v125, v136 :: v_dual_mul_f32 v124, v124, v137
	v_mul_f32_e32 v119, v119, v142
	v_dual_mul_f32 v123, v123, v138 :: v_dual_mul_f32 v122, v122, v139
	v_mul_f32_e32 v120, v120, v141
	ds_load_b128 v[135:138], v3 offset:1088
	ds_load_b128 v[139:142], v3 offset:1104
	s_wait_dscnt 0x0
	v_dual_mul_f32 v118, v118, v135 :: v_dual_mul_f32 v113, v113, v140
	v_dual_mul_f32 v117, v117, v136 :: v_dual_mul_f32 v116, v116, v137
	v_mul_f32_e32 v111, v111, v142
	v_dual_mul_f32 v115, v115, v138 :: v_dual_mul_f32 v114, v114, v139
	v_mul_f32_e32 v112, v112, v141
	;; [unrolled: 8-line block ×14, first 2 shown]
	ds_load_b128 v[135:138], v3 offset:1504
	ds_load_b128 v[139:142], v3 offset:1520
	s_wait_dscnt 0x0
	v_dual_mul_f32 v14, v14, v135 :: v_dual_mul_f32 v9, v9, v140
	v_add_co_u32 v135, vcc_lo, s6, v5
	v_mul_f32_e32 v13, v13, v136
	s_wait_alu 0xfffd
	v_add_co_ci_u32_e64 v136, null, s7, v6, vcc_lo
	v_dual_mul_f32 v12, v12, v137 :: v_dual_mul_f32 v7, v7, v142
	v_mul_f32_e32 v11, v11, v138
	global_load_b32 v143, v[135:136], off
	v_mul_f32_e32 v10, v10, v139
	v_mul_f32_e32 v8, v8, v141
	ds_load_b128 v[135:138], v3
	ds_load_b128 v[139:142], v3 offset:16
	s_wait_loadcnt_dscnt 0x1
	v_fmac_f32_e32 v133, v143, v136
	v_fmac_f32_e32 v134, v143, v135
	;; [unrolled: 1-line block ×3, first 2 shown]
	s_wait_dscnt 0x0
	v_fmac_f32_e32 v130, v143, v139
	v_fmac_f32_e32 v132, v143, v137
	;; [unrolled: 1-line block ×5, first 2 shown]
	ds_load_b128 v[135:138], v3 offset:32
	ds_load_b128 v[139:142], v3 offset:48
	s_wait_dscnt 0x1
	v_fmac_f32_e32 v126, v143, v135
	v_fmac_f32_e32 v125, v143, v136
	v_fmac_f32_e32 v124, v143, v137
	v_fmac_f32_e32 v123, v143, v138
	s_wait_dscnt 0x0
	v_fmac_f32_e32 v122, v143, v139
	v_fmac_f32_e32 v121, v143, v140
	v_fmac_f32_e32 v120, v143, v141
	v_fmac_f32_e32 v119, v143, v142
	ds_load_b128 v[135:138], v3 offset:64
	ds_load_b128 v[139:142], v3 offset:80
	s_wait_dscnt 0x1
	v_fmac_f32_e32 v118, v143, v135
	v_fmac_f32_e32 v117, v143, v136
	v_fmac_f32_e32 v116, v143, v137
	v_fmac_f32_e32 v115, v143, v138
	s_wait_dscnt 0x0
	v_fmac_f32_e32 v114, v143, v139
	v_fmac_f32_e32 v113, v143, v140
	v_fmac_f32_e32 v112, v143, v141
	v_fmac_f32_e32 v111, v143, v142
	;; [unrolled: 12-line block ×15, first 2 shown]
	ds_load_b128 v[135:138], v3 offset:512
	ds_load_b128 v[139:142], v3 offset:528
	s_wait_dscnt 0x1
	v_fma_f32 v143, v134, v135, 0
	s_delay_alu instid0(VALU_DEP_1) | instskip(NEXT) | instid1(VALU_DEP_1)
	v_fmac_f32_e32 v143, v133, v136
	v_fmac_f32_e32 v143, v132, v137
	s_delay_alu instid0(VALU_DEP_1) | instskip(SKIP_1) | instid1(VALU_DEP_1)
	v_fmac_f32_e32 v143, v131, v138
	s_wait_dscnt 0x0
	v_fmac_f32_e32 v143, v130, v139
	s_delay_alu instid0(VALU_DEP_1) | instskip(NEXT) | instid1(VALU_DEP_1)
	v_fmac_f32_e32 v143, v129, v140
	v_fmac_f32_e32 v143, v128, v141
	s_delay_alu instid0(VALU_DEP_1) | instskip(SKIP_4) | instid1(VALU_DEP_1)
	v_fmac_f32_e32 v143, v127, v142
	ds_load_b128 v[135:138], v3 offset:544
	ds_load_b128 v[139:142], v3 offset:560
	s_wait_dscnt 0x1
	v_fmac_f32_e32 v143, v126, v135
	v_fmac_f32_e32 v143, v125, v136
	s_delay_alu instid0(VALU_DEP_1) | instskip(NEXT) | instid1(VALU_DEP_1)
	v_fmac_f32_e32 v143, v124, v137
	v_fmac_f32_e32 v143, v123, v138
	s_wait_dscnt 0x0
	s_delay_alu instid0(VALU_DEP_1) | instskip(NEXT) | instid1(VALU_DEP_1)
	v_fmac_f32_e32 v143, v122, v139
	v_fmac_f32_e32 v143, v121, v140
	s_delay_alu instid0(VALU_DEP_1) | instskip(NEXT) | instid1(VALU_DEP_1)
	v_fmac_f32_e32 v143, v120, v141
	v_fmac_f32_e32 v143, v119, v142
	ds_load_b128 v[135:138], v3 offset:576
	ds_load_b128 v[139:142], v3 offset:592
	s_wait_dscnt 0x1
	v_fmac_f32_e32 v143, v118, v135
	s_delay_alu instid0(VALU_DEP_1) | instskip(NEXT) | instid1(VALU_DEP_1)
	v_fmac_f32_e32 v143, v117, v136
	v_fmac_f32_e32 v143, v116, v137
	s_delay_alu instid0(VALU_DEP_1) | instskip(SKIP_1) | instid1(VALU_DEP_1)
	v_fmac_f32_e32 v143, v115, v138
	s_wait_dscnt 0x0
	v_fmac_f32_e32 v143, v114, v139
	s_delay_alu instid0(VALU_DEP_1) | instskip(NEXT) | instid1(VALU_DEP_1)
	v_fmac_f32_e32 v143, v113, v140
	v_fmac_f32_e32 v143, v112, v141
	s_delay_alu instid0(VALU_DEP_1) | instskip(SKIP_4) | instid1(VALU_DEP_1)
	v_fmac_f32_e32 v143, v111, v142
	ds_load_b128 v[135:138], v3 offset:608
	ds_load_b128 v[139:142], v3 offset:624
	s_wait_dscnt 0x1
	v_fmac_f32_e32 v143, v110, v135
	v_fmac_f32_e32 v143, v109, v136
	s_delay_alu instid0(VALU_DEP_1) | instskip(NEXT) | instid1(VALU_DEP_1)
	v_fmac_f32_e32 v143, v108, v137
	v_fmac_f32_e32 v143, v107, v138
	s_wait_dscnt 0x0
	s_delay_alu instid0(VALU_DEP_1) | instskip(NEXT) | instid1(VALU_DEP_1)
	v_fmac_f32_e32 v143, v106, v139
	v_fmac_f32_e32 v143, v105, v140
	s_delay_alu instid0(VALU_DEP_1) | instskip(NEXT) | instid1(VALU_DEP_1)
	v_fmac_f32_e32 v143, v104, v141
	v_fmac_f32_e32 v143, v103, v142
	ds_load_b128 v[135:138], v3 offset:640
	ds_load_b128 v[139:142], v3 offset:656
	s_wait_dscnt 0x1
	v_fmac_f32_e32 v143, v102, v135
	;; [unrolled: 31-line block ×7, first 2 shown]
	s_delay_alu instid0(VALU_DEP_1) | instskip(NEXT) | instid1(VALU_DEP_1)
	v_fmac_f32_e32 v143, v21, v136
	v_fmac_f32_e32 v143, v20, v137
	s_delay_alu instid0(VALU_DEP_1) | instskip(SKIP_1) | instid1(VALU_DEP_1)
	v_fmac_f32_e32 v143, v19, v138
	s_wait_dscnt 0x0
	v_fmac_f32_e32 v143, v18, v139
	s_delay_alu instid0(VALU_DEP_1) | instskip(NEXT) | instid1(VALU_DEP_1)
	v_fmac_f32_e32 v143, v17, v140
	v_fmac_f32_e32 v143, v16, v141
	s_delay_alu instid0(VALU_DEP_1)
	v_fmac_f32_e32 v143, v15, v142
	ds_load_b128 v[135:138], v3 offset:992
	ds_load_b128 v[139:142], v3 offset:1008
	s_wait_dscnt 0x1
	v_fmac_f32_e32 v143, v14, v135
	v_add_co_u32 v135, vcc_lo, s14, v5
	s_delay_alu instid0(VALU_DEP_2)
	v_fmac_f32_e32 v143, v13, v136
	s_wait_alu 0xfffd
	v_add_co_ci_u32_e64 v136, null, s15, v6, vcc_lo
	s_wait_alu 0xfffe
	v_add_co_u32 v5, vcc_lo, v5, s2
	v_fmac_f32_e32 v143, v12, v137
	s_wait_alu 0xfffd
	v_add_co_ci_u32_e64 v6, null, s3, v6, vcc_lo
	s_delay_alu instid0(VALU_DEP_2) | instskip(SKIP_1) | instid1(VALU_DEP_1)
	v_fmac_f32_e32 v143, v11, v138
	s_wait_dscnt 0x0
	v_fmac_f32_e32 v143, v10, v139
	s_delay_alu instid0(VALU_DEP_1) | instskip(NEXT) | instid1(VALU_DEP_1)
	v_fmac_f32_e32 v143, v9, v140
	v_fmac_f32_e32 v143, v8, v141
	s_delay_alu instid0(VALU_DEP_1) | instskip(NEXT) | instid1(VALU_DEP_1)
	v_fmac_f32_e32 v143, v7, v142
	v_mul_f32_e32 v137, s16, v143
	global_store_b32 v[135:136], v137, off
	s_and_not1_b32 exec_lo, exec_lo, s13
	s_cbranch_execnz .LBB1_2
; %bb.3:
	s_or_b32 exec_lo, exec_lo, s13
.LBB1_4:
	s_delay_alu instid0(SALU_CYCLE_1) | instskip(SKIP_1) | instid1(VALU_DEP_1)
	s_or_b32 exec_lo, exec_lo, s12
	v_mad_co_u64_u32 v[0:1], null, s18, s17, v[1:2]
	v_ashrrev_i32_e32 v1, 31, v0
	s_delay_alu instid0(VALU_DEP_1) | instskip(NEXT) | instid1(VALU_DEP_1)
	v_lshlrev_b64_e32 v[0:1], 2, v[0:1]
	v_add_co_u32 v0, vcc_lo, s14, v0
	s_wait_alu 0xfffd
	s_delay_alu instid0(VALU_DEP_2)
	v_add_co_ci_u32_e64 v1, null, s15, v1, vcc_lo
	s_wait_loadcnt 0x3e
	s_clause 0x1f
	global_store_b32 v[0:1], v134, off
	global_store_b32 v[0:1], v133, off offset:512
	global_store_b32 v[0:1], v132, off offset:1024
	;; [unrolled: 1-line block ×31, first 2 shown]
	s_clause 0x1f
	global_store_b32 v[0:1], v102, off offset:16384
	global_store_b32 v[0:1], v101, off offset:16896
	;; [unrolled: 1-line block ×32, first 2 shown]
	s_clause 0x1
	global_store_b32 v[0:1], v70, off offset:32768
	global_store_b32 v[0:1], v69, off offset:33280
	s_wait_loadcnt 0x3d
	global_store_b32 v[0:1], v68, off offset:33792
	s_wait_loadcnt 0x3c
	;; [unrolled: 2-line block ×62, first 2 shown]
	global_store_b32 v[0:1], v7, off offset:65024
	s_nop 0
	s_sendmsg sendmsg(MSG_DEALLOC_VGPRS)
	s_endpgm
	.section	.rodata,"a",@progbits
	.p2align	6, 0x0
	.amdhsa_kernel _ZL21gated_linear_attn_f32ILi128EEviiiifPKfS1_S1_S1_S1_Pf
		.amdhsa_group_segment_fixed_size 1536
		.amdhsa_private_segment_fixed_size 0
		.amdhsa_kernarg_size 72
		.amdhsa_user_sgpr_count 2
		.amdhsa_user_sgpr_dispatch_ptr 0
		.amdhsa_user_sgpr_queue_ptr 0
		.amdhsa_user_sgpr_kernarg_segment_ptr 1
		.amdhsa_user_sgpr_dispatch_id 0
		.amdhsa_user_sgpr_private_segment_size 0
		.amdhsa_wavefront_size32 1
		.amdhsa_uses_dynamic_stack 0
		.amdhsa_enable_private_segment 0
		.amdhsa_system_sgpr_workgroup_id_x 1
		.amdhsa_system_sgpr_workgroup_id_y 0
		.amdhsa_system_sgpr_workgroup_id_z 0
		.amdhsa_system_sgpr_workgroup_info 0
		.amdhsa_system_vgpr_workitem_id 0
		.amdhsa_next_free_vgpr 144
		.amdhsa_next_free_sgpr 20
		.amdhsa_reserve_vcc 1
		.amdhsa_float_round_mode_32 0
		.amdhsa_float_round_mode_16_64 0
		.amdhsa_float_denorm_mode_32 3
		.amdhsa_float_denorm_mode_16_64 3
		.amdhsa_fp16_overflow 0
		.amdhsa_workgroup_processor_mode 1
		.amdhsa_memory_ordered 1
		.amdhsa_forward_progress 1
		.amdhsa_inst_pref_size 56
		.amdhsa_round_robin_scheduling 0
		.amdhsa_exception_fp_ieee_invalid_op 0
		.amdhsa_exception_fp_denorm_src 0
		.amdhsa_exception_fp_ieee_div_zero 0
		.amdhsa_exception_fp_ieee_overflow 0
		.amdhsa_exception_fp_ieee_underflow 0
		.amdhsa_exception_fp_ieee_inexact 0
		.amdhsa_exception_int_div_zero 0
	.end_amdhsa_kernel
	.section	.text._ZL21gated_linear_attn_f32ILi128EEviiiifPKfS1_S1_S1_S1_Pf,"axG",@progbits,_ZL21gated_linear_attn_f32ILi128EEviiiifPKfS1_S1_S1_S1_Pf,comdat
.Lfunc_end1:
	.size	_ZL21gated_linear_attn_f32ILi128EEviiiifPKfS1_S1_S1_S1_Pf, .Lfunc_end1-_ZL21gated_linear_attn_f32ILi128EEviiiifPKfS1_S1_S1_S1_Pf
                                        ; -- End function
	.set _ZL21gated_linear_attn_f32ILi128EEviiiifPKfS1_S1_S1_S1_Pf.num_vgpr, 144
	.set _ZL21gated_linear_attn_f32ILi128EEviiiifPKfS1_S1_S1_S1_Pf.num_agpr, 0
	.set _ZL21gated_linear_attn_f32ILi128EEviiiifPKfS1_S1_S1_S1_Pf.numbered_sgpr, 20
	.set _ZL21gated_linear_attn_f32ILi128EEviiiifPKfS1_S1_S1_S1_Pf.num_named_barrier, 0
	.set _ZL21gated_linear_attn_f32ILi128EEviiiifPKfS1_S1_S1_S1_Pf.private_seg_size, 0
	.set _ZL21gated_linear_attn_f32ILi128EEviiiifPKfS1_S1_S1_S1_Pf.uses_vcc, 1
	.set _ZL21gated_linear_attn_f32ILi128EEviiiifPKfS1_S1_S1_S1_Pf.uses_flat_scratch, 0
	.set _ZL21gated_linear_attn_f32ILi128EEviiiifPKfS1_S1_S1_S1_Pf.has_dyn_sized_stack, 0
	.set _ZL21gated_linear_attn_f32ILi128EEviiiifPKfS1_S1_S1_S1_Pf.has_recursion, 0
	.set _ZL21gated_linear_attn_f32ILi128EEviiiifPKfS1_S1_S1_S1_Pf.has_indirect_call, 0
	.section	.AMDGPU.csdata,"",@progbits
; Kernel info:
; codeLenInByte = 7124
; TotalNumSgprs: 22
; NumVgprs: 144
; ScratchSize: 0
; MemoryBound: 0
; FloatMode: 240
; IeeeMode: 1
; LDSByteSize: 1536 bytes/workgroup (compile time only)
; SGPRBlocks: 0
; VGPRBlocks: 17
; NumSGPRsForWavesPerEU: 22
; NumVGPRsForWavesPerEU: 144
; Occupancy: 10
; WaveLimiterHint : 1
; COMPUTE_PGM_RSRC2:SCRATCH_EN: 0
; COMPUTE_PGM_RSRC2:USER_SGPR: 2
; COMPUTE_PGM_RSRC2:TRAP_HANDLER: 0
; COMPUTE_PGM_RSRC2:TGID_X_EN: 1
; COMPUTE_PGM_RSRC2:TGID_Y_EN: 0
; COMPUTE_PGM_RSRC2:TGID_Z_EN: 0
; COMPUTE_PGM_RSRC2:TIDIG_COMP_CNT: 0
	.section	.AMDGPU.gpr_maximums,"",@progbits
	.set amdgpu.max_num_vgpr, 0
	.set amdgpu.max_num_agpr, 0
	.set amdgpu.max_num_sgpr, 0
	.section	.AMDGPU.csdata,"",@progbits
	.type	__hip_cuid_e16d3f80027fcd,@object ; @__hip_cuid_e16d3f80027fcd
	.section	.bss,"aw",@nobits
	.globl	__hip_cuid_e16d3f80027fcd
__hip_cuid_e16d3f80027fcd:
	.byte	0                               ; 0x0
	.size	__hip_cuid_e16d3f80027fcd, 1

	.ident	"AMD clang version 22.0.0git (https://github.com/RadeonOpenCompute/llvm-project roc-7.2.4 26084 f58b06dce1f9c15707c5f808fd002e18c2accf7e)"
	.section	".note.GNU-stack","",@progbits
	.addrsig
	.addrsig_sym __hip_cuid_e16d3f80027fcd
	.amdgpu_metadata
---
amdhsa.kernels:
  - .args:
      - .offset:         0
        .size:           4
        .value_kind:     by_value
      - .offset:         4
        .size:           4
        .value_kind:     by_value
      - .offset:         8
        .size:           4
        .value_kind:     by_value
      - .offset:         12
        .size:           4
        .value_kind:     by_value
      - .offset:         16
        .size:           4
        .value_kind:     by_value
      - .address_space:  global
        .offset:         24
        .size:           8
        .value_kind:     global_buffer
      - .address_space:  global
        .offset:         32
        .size:           8
        .value_kind:     global_buffer
      - .address_space:  global
        .offset:         40
        .size:           8
        .value_kind:     global_buffer
      - .address_space:  global
        .offset:         48
        .size:           8
        .value_kind:     global_buffer
      - .address_space:  global
        .offset:         56
        .size:           8
        .value_kind:     global_buffer
      - .address_space:  global
        .offset:         64
        .size:           8
        .value_kind:     global_buffer
    .group_segment_fixed_size: 768
    .kernarg_segment_align: 8
    .kernarg_segment_size: 72
    .language:       OpenCL C
    .language_version:
      - 2
      - 0
    .max_flat_workgroup_size: 1024
    .name:           _ZL21gated_linear_attn_f32ILi64EEviiiifPKfS1_S1_S1_S1_Pf
    .private_segment_fixed_size: 0
    .sgpr_count:     22
    .sgpr_spill_count: 0
    .symbol:         _ZL21gated_linear_attn_f32ILi64EEviiiifPKfS1_S1_S1_S1_Pf.kd
    .uniform_work_group_size: 1
    .uses_dynamic_stack: false
    .vgpr_count:     91
    .vgpr_spill_count: 0
    .wavefront_size: 32
    .workgroup_processor_mode: 1
  - .args:
      - .offset:         0
        .size:           4
        .value_kind:     by_value
      - .offset:         4
        .size:           4
        .value_kind:     by_value
      - .offset:         8
        .size:           4
        .value_kind:     by_value
      - .offset:         12
        .size:           4
        .value_kind:     by_value
      - .offset:         16
        .size:           4
        .value_kind:     by_value
      - .address_space:  global
        .offset:         24
        .size:           8
        .value_kind:     global_buffer
      - .address_space:  global
        .offset:         32
        .size:           8
        .value_kind:     global_buffer
      - .address_space:  global
        .offset:         40
        .size:           8
        .value_kind:     global_buffer
      - .address_space:  global
        .offset:         48
        .size:           8
        .value_kind:     global_buffer
      - .address_space:  global
        .offset:         56
        .size:           8
        .value_kind:     global_buffer
      - .address_space:  global
        .offset:         64
        .size:           8
        .value_kind:     global_buffer
    .group_segment_fixed_size: 1536
    .kernarg_segment_align: 8
    .kernarg_segment_size: 72
    .language:       OpenCL C
    .language_version:
      - 2
      - 0
    .max_flat_workgroup_size: 1024
    .name:           _ZL21gated_linear_attn_f32ILi128EEviiiifPKfS1_S1_S1_S1_Pf
    .private_segment_fixed_size: 0
    .sgpr_count:     22
    .sgpr_spill_count: 0
    .symbol:         _ZL21gated_linear_attn_f32ILi128EEviiiifPKfS1_S1_S1_S1_Pf.kd
    .uniform_work_group_size: 1
    .uses_dynamic_stack: false
    .vgpr_count:     144
    .vgpr_spill_count: 0
    .wavefront_size: 32
    .workgroup_processor_mode: 1
amdhsa.target:   amdgcn-amd-amdhsa--gfx1201
amdhsa.version:
  - 1
  - 2
...

	.end_amdgpu_metadata
